;; amdgpu-corpus repo=ROCm/rocFFT kind=compiled arch=gfx906 opt=O3
	.text
	.amdgcn_target "amdgcn-amd-amdhsa--gfx906"
	.amdhsa_code_object_version 6
	.protected	fft_rtc_fwd_len54_factors_2_3_3_3_wgs_60_tpt_6_halfLds_dim1_sp_op_CI_CI_unitstride_sbrr_C2R_dirReg ; -- Begin function fft_rtc_fwd_len54_factors_2_3_3_3_wgs_60_tpt_6_halfLds_dim1_sp_op_CI_CI_unitstride_sbrr_C2R_dirReg
	.globl	fft_rtc_fwd_len54_factors_2_3_3_3_wgs_60_tpt_6_halfLds_dim1_sp_op_CI_CI_unitstride_sbrr_C2R_dirReg
	.p2align	8
	.type	fft_rtc_fwd_len54_factors_2_3_3_3_wgs_60_tpt_6_halfLds_dim1_sp_op_CI_CI_unitstride_sbrr_C2R_dirReg,@function
fft_rtc_fwd_len54_factors_2_3_3_3_wgs_60_tpt_6_halfLds_dim1_sp_op_CI_CI_unitstride_sbrr_C2R_dirReg: ; @fft_rtc_fwd_len54_factors_2_3_3_3_wgs_60_tpt_6_halfLds_dim1_sp_op_CI_CI_unitstride_sbrr_C2R_dirReg
; %bb.0:
	v_mul_u32_u24_e32 v1, 0x2aab, v0
	v_lshrrev_b32_e32 v1, 16, v1
	v_mad_u64_u32 v[6:7], s[0:1], s6, 10, v[1:2]
	s_mov_b32 s0, 0xcccccccd
	s_load_dwordx4 s[8:11], s[4:5], 0x18
	v_mul_hi_u32 v2, v6, s0
	v_mov_b32_e32 v7, 0
	s_movk_i32 s2, 0x2aab
                                        ; implicit-def: $vgpr4
	s_waitcnt lgkmcnt(0)
	v_cmp_gt_u64_e32 vcc, s[10:11], v[6:7]
	v_lshrrev_b32_e32 v2, 3, v2
	v_mul_lo_u32 v2, v2, 10
	v_cmp_le_u64_e64 s[0:1], s[10:11], v[6:7]
                                        ; implicit-def: $vgpr7
	v_sub_u32_e32 v2, v6, v2
	s_and_saveexec_b64 s[6:7], s[0:1]
	s_xor_b64 s[0:1], exec, s[6:7]
; %bb.1:
	v_mul_u32_u24_sdwa v1, v0, s2 dst_sel:DWORD dst_unused:UNUSED_PAD src0_sel:WORD_0 src1_sel:DWORD
	v_mov_b32_e32 v3, 6
	v_mul_lo_u16_sdwa v1, v1, v3 dst_sel:DWORD dst_unused:UNUSED_PAD src0_sel:WORD_1 src1_sel:DWORD
	v_sub_u16_e32 v7, v0, v1
	v_sub_u16_e32 v4, v0, v1
                                        ; implicit-def: $vgpr1
                                        ; implicit-def: $vgpr0
; %bb.2:
	s_or_saveexec_b64 s[10:11], s[0:1]
	s_load_dwordx2 s[6:7], s[4:5], 0x0
	s_load_dwordx2 s[2:3], s[8:9], 0x8
	v_mul_u32_u24_e32 v2, 55, v2
	v_lshlrev_b32_e32 v13, 3, v2
	s_xor_b64 exec, exec, s[10:11]
	s_cbranch_execz .LBB0_6
; %bb.3:
	s_load_dwordx2 s[0:1], s[4:5], 0x10
	s_load_dwordx2 s[8:9], s[4:5], 0x50
	v_mul_lo_u16_e32 v7, 6, v1
	v_sub_u16_e32 v7, v0, v7
	s_waitcnt lgkmcnt(0)
	s_load_dwordx2 s[0:1], s[0:1], 0x8
	v_mov_b32_e32 v8, s9
	s_waitcnt lgkmcnt(0)
	v_mad_u64_u32 v[3:4], s[12:13], s0, v6, 0
	v_mov_b32_e32 v1, v4
	v_mad_u64_u32 v[4:5], s[0:1], s1, v6, v[1:2]
	v_lshlrev_b32_e32 v5, 3, v7
	v_lshlrev_b64 v[0:1], 3, v[3:4]
	v_add_co_u32_e64 v0, s[0:1], s8, v0
	v_addc_co_u32_e64 v1, s[0:1], v8, v1, s[0:1]
	v_add_co_u32_e64 v3, s[0:1], v0, v5
	v_addc_co_u32_e64 v4, s[0:1], 0, v1, s[0:1]
	global_load_dwordx2 v[8:9], v[3:4], off
	global_load_dwordx2 v[10:11], v[3:4], off offset:48
	global_load_dwordx2 v[14:15], v[3:4], off offset:96
	;; [unrolled: 1-line block ×8, first 2 shown]
	v_cmp_eq_u16_e64 s[0:1], 5, v7
	v_add3_u32 v3, 0, v13, v5
	v_mov_b32_e32 v4, v7
	s_waitcnt vmcnt(7)
	ds_write2_b64 v3, v[8:9], v[10:11] offset1:6
	s_waitcnt vmcnt(5)
	ds_write2_b64 v3, v[14:15], v[16:17] offset0:12 offset1:18
	s_waitcnt vmcnt(3)
	ds_write2_b64 v3, v[18:19], v[20:21] offset0:24 offset1:30
	;; [unrolled: 2-line block ×3, first 2 shown]
	s_waitcnt vmcnt(0)
	ds_write_b64 v3, v[26:27] offset:384
	s_and_saveexec_b64 s[8:9], s[0:1]
	s_cbranch_execz .LBB0_5
; %bb.4:
	global_load_dwordx2 v[0:1], v[0:1], off offset:432
	v_mov_b32_e32 v7, 5
	v_mov_b32_e32 v4, 5
	s_waitcnt vmcnt(0)
	ds_write_b64 v3, v[0:1] offset:392
.LBB0_5:
	s_or_b64 exec, exec, s[8:9]
.LBB0_6:
	s_or_b64 exec, exec, s[10:11]
	v_lshl_add_u32 v11, v2, 3, 0
	v_lshlrev_b32_e32 v15, 3, v4
	v_add_u32_e32 v12, v11, v15
	s_waitcnt lgkmcnt(0)
	; wave barrier
	s_waitcnt lgkmcnt(0)
	v_sub_u32_e32 v8, v11, v15
	ds_read_b32 v0, v12
	ds_read_b32 v1, v8 offset:432
	v_cmp_ne_u16_e64 s[0:1], 0, v7
	s_waitcnt lgkmcnt(0)
	v_add_f32_e32 v2, v1, v0
	v_sub_f32_e32 v3, v0, v1
	s_and_saveexec_b64 s[8:9], s[0:1]
	s_xor_b64 s[0:1], exec, s[8:9]
	s_cbranch_execz .LBB0_8
; %bb.7:
	v_mov_b32_e32 v2, 3
	v_lshlrev_b32_sdwa v2, v2, v7 dst_sel:DWORD dst_unused:UNUSED_PAD src0_sel:DWORD src1_sel:WORD_0
	global_load_dwordx2 v[9:10], v2, s[6:7] offset:416
	ds_read_b32 v2, v8 offset:436
	ds_read_b32 v3, v12 offset:4
	v_add_f32_e32 v5, v1, v0
	v_sub_f32_e32 v14, v0, v1
	s_waitcnt lgkmcnt(0)
	v_add_f32_e32 v16, v2, v3
	v_sub_f32_e32 v1, v3, v2
	s_waitcnt vmcnt(0)
	v_fma_f32 v3, v16, v10, v1
	v_fma_f32 v0, -v14, v10, v5
	v_fma_f32 v1, v16, v10, -v1
	v_fma_f32 v2, v14, v10, v5
	v_fmac_f32_e32 v0, v9, v16
	v_fmac_f32_e32 v1, v14, v9
	v_fma_f32 v2, -v9, v16, v2
	v_fmac_f32_e32 v3, v14, v9
	ds_write_b64 v8, v[0:1] offset:432
.LBB0_8:
	s_andn2_saveexec_b64 s[0:1], s[0:1]
	s_cbranch_execz .LBB0_10
; %bb.9:
	ds_read_b64 v[0:1], v11 offset:216
	s_waitcnt lgkmcnt(0)
	v_add_f32_e32 v0, v0, v0
	v_mul_f32_e32 v1, -2.0, v1
	ds_write_b64 v11, v[0:1] offset:216
.LBB0_10:
	s_or_b64 exec, exec, s[0:1]
	v_mov_b32_e32 v5, 0
	s_add_u32 s0, s6, 0x1a0
	v_lshlrev_b64 v[0:1], 3, v[4:5]
	s_addc_u32 s1, s7, 0
	v_mov_b32_e32 v5, s1
	v_add_co_u32_e64 v0, s[0:1], s0, v0
	v_addc_co_u32_e64 v1, s[0:1], v5, v1, s[0:1]
	global_load_dwordx2 v[9:10], v[0:1], off offset:48
	global_load_dwordx2 v[16:17], v[0:1], off offset:96
	;; [unrolled: 1-line block ×3, first 2 shown]
	ds_write_b64 v12, v[2:3]
	ds_read_b64 v[2:3], v12 offset:48
	ds_read_b64 v[20:21], v8 offset:384
	s_waitcnt lgkmcnt(0)
	v_add_f32_e32 v5, v2, v20
	v_add_f32_e32 v14, v21, v3
	v_sub_f32_e32 v22, v2, v20
	v_sub_f32_e32 v2, v3, v21
	s_waitcnt vmcnt(2)
	v_fma_f32 v23, v22, v10, v5
	v_fma_f32 v3, v14, v10, v2
	v_fma_f32 v20, -v22, v10, v5
	v_fma_f32 v21, v14, v10, -v2
	v_fma_f32 v2, -v9, v14, v23
	v_fmac_f32_e32 v3, v22, v9
	v_fmac_f32_e32 v20, v9, v14
	;; [unrolled: 1-line block ×3, first 2 shown]
	ds_write_b64 v12, v[2:3] offset:48
	ds_write_b64 v8, v[20:21] offset:384
	ds_read_b64 v[2:3], v12 offset:96
	ds_read_b64 v[9:10], v8 offset:336
	s_waitcnt lgkmcnt(0)
	v_add_f32_e32 v5, v2, v9
	v_add_f32_e32 v14, v10, v3
	v_sub_f32_e32 v20, v2, v9
	v_sub_f32_e32 v2, v3, v10
	s_waitcnt vmcnt(1)
	v_fma_f32 v21, v20, v17, v5
	v_fma_f32 v3, v14, v17, v2
	v_fma_f32 v9, -v20, v17, v5
	v_fma_f32 v10, v14, v17, -v2
	v_fma_f32 v2, -v16, v14, v21
	v_fmac_f32_e32 v3, v20, v16
	v_fmac_f32_e32 v9, v16, v14
	;; [unrolled: 1-line block ×3, first 2 shown]
	ds_write_b64 v12, v[2:3] offset:96
	ds_write_b64 v8, v[9:10] offset:336
	ds_read_b64 v[2:3], v12 offset:144
	ds_read_b64 v[9:10], v8 offset:288
	v_or_b32_e32 v5, 24, v4
	v_cmp_gt_u32_e64 s[0:1], 27, v5
	s_waitcnt lgkmcnt(0)
	v_add_f32_e32 v14, v2, v9
	v_add_f32_e32 v16, v10, v3
	v_sub_f32_e32 v17, v2, v9
	v_sub_f32_e32 v2, v3, v10
	s_waitcnt vmcnt(0)
	v_fma_f32 v20, v17, v19, v14
	v_fma_f32 v3, v16, v19, v2
	v_fma_f32 v9, -v17, v19, v14
	v_fma_f32 v10, v16, v19, -v2
	v_fma_f32 v2, -v18, v16, v20
	v_fmac_f32_e32 v3, v17, v18
	v_fmac_f32_e32 v9, v18, v16
	;; [unrolled: 1-line block ×3, first 2 shown]
	ds_write_b64 v12, v[2:3] offset:144
	ds_write_b64 v8, v[9:10] offset:288
	s_and_saveexec_b64 s[8:9], s[0:1]
	s_cbranch_execz .LBB0_12
; %bb.11:
	global_load_dwordx2 v[0:1], v[0:1], off offset:192
	ds_read_b64 v[2:3], v12 offset:192
	ds_read_b64 v[9:10], v8 offset:240
	s_waitcnt lgkmcnt(0)
	v_add_f32_e32 v5, v2, v9
	v_add_f32_e32 v14, v10, v3
	v_sub_f32_e32 v16, v2, v9
	v_sub_f32_e32 v3, v3, v10
	s_waitcnt vmcnt(0)
	v_fma_f32 v17, v16, v1, v5
	v_fma_f32 v2, v14, v1, v3
	v_fma_f32 v9, -v16, v1, v5
	v_fma_f32 v10, v14, v1, -v3
	v_fma_f32 v1, -v0, v14, v17
	v_fmac_f32_e32 v2, v16, v0
	v_fmac_f32_e32 v9, v0, v14
	;; [unrolled: 1-line block ×3, first 2 shown]
	ds_write_b64 v12, v[1:2] offset:192
	ds_write_b64 v8, v[9:10] offset:240
.LBB0_12:
	s_or_b64 exec, exec, s[8:9]
	v_add_u32_e32 v8, 0, v15
	v_add_u32_e32 v5, v8, v13
	s_waitcnt lgkmcnt(0)
	; wave barrier
	s_waitcnt lgkmcnt(0)
	s_waitcnt lgkmcnt(0)
	; wave barrier
	s_waitcnt lgkmcnt(0)
	ds_read2_b64 v[17:20], v5 offset0:27 offset1:33
	ds_read2_b64 v[21:24], v5 offset0:6 offset1:12
	v_add_u32_e32 v16, 6, v4
	v_lshlrev_b32_e32 v14, 4, v16
	v_add3_u32 v14, 0, v14, v13
	v_cmp_gt_u16_e64 s[0:1], 3, v7
	s_waitcnt lgkmcnt(0)
	v_sub_f32_e32 v25, v21, v19
	v_sub_f32_e32 v26, v22, v20
	v_fma_f32 v27, v21, 2.0, -v25
	v_fma_f32 v28, v22, 2.0, -v26
	ds_read_b64 v[29:30], v12
	ds_read_b64 v[9:10], v5 offset:408
	ds_read2_b64 v[19:22], v5 offset0:39 offset1:45
	ds_read2_b64 v[0:3], v5 offset0:18 offset1:24
	s_waitcnt lgkmcnt(0)
	; wave barrier
	s_waitcnt lgkmcnt(0)
	ds_write2_b64 v14, v[27:28], v[25:26] offset1:1
	v_add_u32_e32 v14, 12, v4
	v_sub_f32_e32 v19, v23, v19
	v_sub_f32_e32 v20, v24, v20
	v_lshlrev_b32_e32 v25, 4, v14
	v_fma_f32 v23, v23, 2.0, -v19
	v_fma_f32 v24, v24, 2.0, -v20
	v_add3_u32 v25, 0, v25, v13
	ds_write2_b64 v25, v[23:24], v[19:20] offset1:1
	v_sub_f32_e32 v19, v0, v21
	v_sub_f32_e32 v20, v1, v22
	v_lshlrev_b32_e32 v21, 4, v4
	v_fma_f32 v0, v0, 2.0, -v19
	v_fma_f32 v1, v1, 2.0, -v20
	v_add3_u32 v21, v21, 0, v13
	ds_write2_b64 v21, v[0:1], v[19:20] offset0:36 offset1:37
	v_sub_f32_e32 v17, v29, v17
	v_sub_f32_e32 v18, v30, v18
	v_add_u32_e32 v0, v8, v15
	v_fma_f32 v19, v29, 2.0, -v17
	v_fma_f32 v20, v30, 2.0, -v18
	v_add_u32_e32 v1, v0, v13
	v_lshlrev_b32_e32 v8, 1, v16
	v_lshlrev_b32_e32 v7, 1, v14
	ds_write2_b64 v1, v[19:20], v[17:18] offset1:1
	s_and_saveexec_b64 s[8:9], s[0:1]
	s_cbranch_execz .LBB0_14
; %bb.13:
	v_sub_f32_e32 v10, v3, v10
	v_sub_f32_e32 v9, v2, v9
	v_fma_f32 v3, v3, 2.0, -v10
	v_fma_f32 v2, v2, 2.0, -v9
	ds_write2_b64 v1, v[2:3], v[9:10] offset0:48 offset1:49
.LBB0_14:
	s_or_b64 exec, exec, s[8:9]
	v_and_b32_e32 v3, 1, v4
	v_lshlrev_b32_e32 v1, 4, v3
	s_waitcnt lgkmcnt(0)
	; wave barrier
	s_waitcnt lgkmcnt(0)
	global_load_dwordx4 v[17:20], v1, s[6:7]
	v_sub_u32_e32 v0, v0, v15
	v_add_u32_e32 v2, v0, v13
	ds_read2_b64 v[21:24], v2 offset0:36 offset1:42
	ds_read2_b64 v[25:28], v2 offset0:18 offset1:30
	v_lshrrev_b32_e32 v16, 1, v16
	v_mul_u32_u24_e32 v16, 6, v16
	v_or_b32_e32 v16, v16, v3
	v_lshlrev_b32_e32 v16, 3, v16
	s_waitcnt vmcnt(0) lgkmcnt(1)
	v_mul_f32_e32 v0, v20, v22
	v_mul_f32_e32 v1, v20, v24
	;; [unrolled: 1-line block ×3, first 2 shown]
	v_fma_f32 v31, v19, v21, -v0
	v_fma_f32 v23, v19, v23, -v1
	ds_read_b64 v[0:1], v5 offset:192
	v_mul_f32_e32 v15, v20, v21
	s_waitcnt lgkmcnt(1)
	v_mul_f32_e32 v9, v18, v26
	v_mul_f32_e32 v30, v18, v25
	;; [unrolled: 1-line block ×3, first 2 shown]
	v_fmac_f32_e32 v15, v19, v22
	v_fma_f32 v25, v17, v25, -v9
	v_fmac_f32_e32 v30, v17, v26
	v_fma_f32 v26, v17, v27, -v10
	ds_read_b64 v[9:10], v2 offset:384
	ds_read_b64 v[21:22], v12
	v_fmac_f32_e32 v29, v19, v24
	v_mul_f32_e32 v24, v17, v28
	v_fmac_f32_e32 v24, v18, v27
	s_waitcnt lgkmcnt(2)
	v_mul_f32_e32 v27, v18, v1
	v_fma_f32 v27, v17, v0, -v27
	v_mul_f32_e32 v28, v18, v0
	s_waitcnt lgkmcnt(1)
	v_mul_f32_e32 v0, v20, v10
	v_fma_f32 v32, v19, v9, -v0
	v_lshrrev_b32_e32 v0, 1, v4
	v_fmac_f32_e32 v28, v17, v1
	v_mul_f32_e32 v33, v20, v9
	v_mul_u32_u24_e32 v9, 6, v0
	s_waitcnt lgkmcnt(0)
	v_add_f32_e32 v0, v22, v30
	v_add_f32_e32 v17, v21, v25
	;; [unrolled: 1-line block ×3, first 2 shown]
	v_fmac_f32_e32 v33, v19, v10
	v_add_f32_e32 v1, v0, v15
	v_add_f32_e32 v0, v17, v31
	v_fma_f32 v21, -0.5, v18, v21
	ds_read2_b64 v[17:20], v2 offset0:6 offset1:12
	v_add_f32_e32 v10, v30, v15
	v_or_b32_e32 v9, v9, v3
	v_fmac_f32_e32 v22, -0.5, v10
	v_lshlrev_b32_e32 v9, 3, v9
	v_sub_f32_e32 v34, v30, v15
	v_sub_f32_e32 v25, v25, v31
	v_add3_u32 v15, 0, v9, v13
	v_mov_b32_e32 v9, v21
	v_mov_b32_e32 v10, v22
	v_fmac_f32_e32 v9, 0x3f5db3d7, v34
	v_fmac_f32_e32 v10, 0xbf5db3d7, v25
	s_waitcnt lgkmcnt(0)
	; wave barrier
	s_waitcnt lgkmcnt(0)
	ds_write2_b64 v15, v[0:1], v[9:10] offset1:2
	v_add_f32_e32 v0, v18, v28
	v_add_f32_e32 v10, v28, v29
	;; [unrolled: 1-line block ×5, first 2 shown]
	v_fma_f32 v9, -0.5, v9, v17
	v_fma_f32 v10, -0.5, v10, v18
	v_add_f32_e32 v17, v19, v26
	v_fmac_f32_e32 v21, 0xbf5db3d7, v34
	v_fmac_f32_e32 v22, 0x3f5db3d7, v25
	v_sub_f32_e32 v30, v28, v29
	v_add_f32_e32 v0, v0, v23
	v_sub_f32_e32 v23, v27, v23
	v_add3_u32 v27, 0, v16, v13
	ds_write_b64 v15, v[21:22] offset:32
	v_add_f32_e32 v15, v17, v32
	v_mov_b32_e32 v16, v9
	v_mov_b32_e32 v17, v10
	v_add_f32_e32 v18, v26, v32
	v_fmac_f32_e32 v16, 0x3f5db3d7, v30
	v_fmac_f32_e32 v17, 0xbf5db3d7, v23
	v_fma_f32 v19, -0.5, v18, v19
	ds_write2_b64 v27, v[0:1], v[16:17] offset1:2
	v_add_f32_e32 v1, v24, v33
	v_sub_f32_e32 v18, v24, v33
	v_mov_b32_e32 v17, v19
	v_add_f32_e32 v0, v20, v24
	v_fmac_f32_e32 v20, -0.5, v1
	v_fmac_f32_e32 v17, 0x3f5db3d7, v18
	v_fmac_f32_e32 v19, 0xbf5db3d7, v18
	v_sub_f32_e32 v1, v26, v32
	v_mov_b32_e32 v18, v20
	v_fmac_f32_e32 v18, 0xbf5db3d7, v1
	v_fmac_f32_e32 v20, 0x3f5db3d7, v1
	v_lshrrev_b32_e32 v1, 1, v14
	v_mul_u32_u24_e32 v1, 6, v1
	v_or_b32_e32 v1, v1, v3
	v_lshlrev_b32_e32 v1, 3, v1
	v_fmac_f32_e32 v9, 0xbf5db3d7, v30
	v_fmac_f32_e32 v10, 0x3f5db3d7, v23
	v_add_f32_e32 v16, v0, v33
	v_add3_u32 v1, 0, v1, v13
	v_lshlrev_b32_e32 v0, 1, v4
	ds_write_b64 v27, v[9:10] offset:32
	ds_write2_b64 v1, v[15:16], v[17:18] offset1:2
	ds_write_b64 v1, v[19:20] offset:32
	v_mov_b32_e32 v1, 0
	v_lshlrev_b64 v[9:10], 3, v[0:1]
	v_mov_b32_e32 v0, s7
	v_add_co_u32_e64 v27, s[0:1], s6, v9
	v_addc_co_u32_e64 v28, s[0:1], v0, v10, s[0:1]
	s_waitcnt lgkmcnt(0)
	; wave barrier
	s_waitcnt lgkmcnt(0)
	global_load_dwordx4 v[15:18], v[27:28], off offset:32
	s_movk_i32 s0, 0xab
	v_mul_lo_u16_sdwa v3, v14, s0 dst_sel:DWORD dst_unused:UNUSED_PAD src0_sel:BYTE_0 src1_sel:DWORD
	v_lshrrev_b16_e32 v3, 10, v3
	v_mul_lo_u16_e32 v3, 6, v3
	v_sub_u16_e32 v3, v14, v3
	v_mov_b32_e32 v9, 4
	v_lshlrev_b32_sdwa v9, v9, v3 dst_sel:DWORD dst_unused:UNUSED_PAD src0_sel:DWORD src1_sel:BYTE_0
	global_load_dwordx4 v[19:22], v9, s[6:7] offset:32
	ds_read2_b64 v[23:26], v2 offset0:36 offset1:42
	s_waitcnt vmcnt(1) lgkmcnt(0)
	v_mul_f32_e32 v9, v18, v24
	v_mul_f32_e32 v14, v18, v23
	;; [unrolled: 1-line block ×4, first 2 shown]
	v_fma_f32 v32, v17, v23, -v9
	v_fmac_f32_e32 v14, v17, v24
	v_fma_f32 v33, v17, v25, -v10
	v_fmac_f32_e32 v31, v17, v26
	ds_read_b64 v[9:10], v5 offset:192
	ds_read_b64 v[17:18], v2 offset:384
	ds_read_b64 v[29:30], v12
	s_waitcnt lgkmcnt(2)
	v_mul_f32_e32 v23, v16, v10
	v_fma_f32 v34, v15, v9, -v23
	ds_read2_b64 v[23:26], v2 offset0:18 offset1:30
	v_mul_f32_e32 v35, v16, v9
	v_fmac_f32_e32 v35, v15, v10
	s_waitcnt lgkmcnt(0)
	v_mul_f32_e32 v9, v16, v24
	v_fma_f32 v36, v15, v23, -v9
	v_mul_f32_e32 v9, v16, v23
	s_waitcnt vmcnt(0)
	v_mul_f32_e32 v10, v20, v26
	v_fmac_f32_e32 v9, v15, v24
	v_fma_f32 v23, v19, v25, -v10
	v_mul_f32_e32 v10, v18, v22
	v_mul_f32_e32 v24, v20, v25
	v_fma_f32 v25, v17, v21, -v10
	v_add_f32_e32 v10, v30, v9
	v_sub_f32_e32 v20, v9, v14
	v_add_f32_e32 v15, v9, v14
	v_add_f32_e32 v10, v10, v14
	;; [unrolled: 1-line block ×3, first 2 shown]
	v_mul_f32_e32 v22, v17, v22
	v_add_f32_e32 v9, v29, v36
	v_fma_f32 v29, -0.5, v14, v29
	v_fmac_f32_e32 v30, -0.5, v15
	ds_read2_b64 v[14:17], v2 offset0:6 offset1:12
	v_fmac_f32_e32 v24, v19, v26
	v_fmac_f32_e32 v22, v18, v21
	v_sub_f32_e32 v21, v36, v32
	v_mov_b32_e32 v18, v29
	v_mov_b32_e32 v19, v30
	v_add_f32_e32 v9, v9, v32
	v_fmac_f32_e32 v18, 0x3f5db3d7, v20
	v_fmac_f32_e32 v19, 0xbf5db3d7, v21
	s_waitcnt lgkmcnt(0)
	; wave barrier
	s_waitcnt lgkmcnt(0)
	ds_write2_b64 v5, v[9:10], v[18:19] offset1:6
	v_add_f32_e32 v9, v14, v34
	v_add_f32_e32 v10, v15, v35
	v_fmac_f32_e32 v29, 0xbf5db3d7, v20
	v_fmac_f32_e32 v30, 0x3f5db3d7, v21
	v_add_f32_e32 v9, v9, v33
	v_add_f32_e32 v10, v10, v31
	ds_write2_b64 v5, v[29:30], v[9:10] offset0:12 offset1:18
	v_add_f32_e32 v9, v34, v33
	v_fma_f32 v9, -0.5, v9, v14
	v_sub_f32_e32 v10, v35, v31
	v_mov_b32_e32 v14, v9
	v_fmac_f32_e32 v14, 0x3f5db3d7, v10
	v_fmac_f32_e32 v9, 0xbf5db3d7, v10
	v_add_f32_e32 v10, v35, v31
	v_fma_f32 v10, -0.5, v10, v15
	v_sub_f32_e32 v18, v34, v33
	v_mov_b32_e32 v15, v10
	v_fmac_f32_e32 v15, 0xbf5db3d7, v18
	v_fmac_f32_e32 v10, 0x3f5db3d7, v18
	v_add_f32_e32 v18, v23, v25
	v_add_f32_e32 v19, v16, v23
	v_fma_f32 v16, -0.5, v18, v16
	v_sub_f32_e32 v20, v24, v22
	v_mov_b32_e32 v18, v16
	ds_write_b64 v5, v[14:15] offset:192
	ds_write_b64 v2, v[9:10] offset:240
	v_mov_b32_e32 v9, 3
	v_fmac_f32_e32 v18, 0x3f5db3d7, v20
	v_fmac_f32_e32 v16, 0xbf5db3d7, v20
	v_add_f32_e32 v20, v19, v25
	v_add_f32_e32 v19, v17, v24
	v_lshlrev_b32_sdwa v3, v9, v3 dst_sel:DWORD dst_unused:UNUSED_PAD src0_sel:DWORD src1_sel:BYTE_0
	v_mov_b32_e32 v9, v1
	v_add_f32_e32 v21, v19, v22
	v_add_f32_e32 v19, v24, v22
	v_lshlrev_b64 v[8:9], 3, v[8:9]
	v_fmac_f32_e32 v17, -0.5, v19
	v_sub_f32_e32 v22, v23, v25
	v_mov_b32_e32 v19, v17
	v_add_co_u32_e64 v8, s[0:1], s6, v8
	v_fmac_f32_e32 v19, 0xbf5db3d7, v22
	v_fmac_f32_e32 v17, 0x3f5db3d7, v22
	v_add3_u32 v3, 0, v3, v13
	v_addc_co_u32_e64 v9, s[0:1], v0, v9, s[0:1]
	ds_write2_b64 v3, v[20:21], v[18:19] offset0:36 offset1:42
	ds_write_b64 v3, v[16:17] offset:384
	s_waitcnt lgkmcnt(0)
	; wave barrier
	s_waitcnt lgkmcnt(0)
	global_load_dwordx4 v[13:16], v[8:9], off offset:128
	global_load_dwordx4 v[17:20], v[27:28], off offset:128
	v_mov_b32_e32 v8, v1
	v_lshlrev_b64 v[7:8], 3, v[7:8]
	v_add_co_u32_e64 v7, s[0:1], s6, v7
	v_addc_co_u32_e64 v8, s[0:1], v0, v8, s[0:1]
	global_load_dwordx4 v[7:10], v[7:8], off offset:128
	ds_read2_b64 v[21:24], v2 offset0:36 offset1:42
	ds_read_b64 v[25:26], v5 offset:192
	ds_read_b64 v[27:28], v2 offset:384
	ds_read_b64 v[29:30], v12
	s_waitcnt vmcnt(2) lgkmcnt(3)
	v_mul_f32_e32 v0, v16, v24
	v_mul_f32_e32 v3, v16, v23
	s_waitcnt lgkmcnt(2)
	v_mul_f32_e32 v12, v14, v26
	v_mul_f32_e32 v31, v14, v25
	v_fma_f32 v0, v15, v23, -v0
	v_fmac_f32_e32 v3, v15, v24
	v_fma_f32 v23, v13, v25, -v12
	v_fmac_f32_e32 v31, v13, v26
	ds_read2_b64 v[12:15], v2 offset0:18 offset1:30
	s_waitcnt vmcnt(1)
	v_mul_f32_e32 v16, v20, v22
	v_mul_f32_e32 v20, v20, v21
	v_fma_f32 v16, v19, v21, -v16
	v_fmac_f32_e32 v20, v19, v22
	s_waitcnt lgkmcnt(0)
	v_mul_f32_e32 v19, v18, v13
	s_waitcnt vmcnt(0)
	v_mul_f32_e32 v21, v8, v15
	v_mul_f32_e32 v22, v8, v14
	v_fma_f32 v19, v17, v12, -v19
	v_fma_f32 v21, v7, v14, -v21
	v_fmac_f32_e32 v22, v7, v15
	v_mul_f32_e32 v7, v28, v10
	v_fma_f32 v24, v27, v9, -v7
	v_add_f32_e32 v7, v29, v19
	v_mul_f32_e32 v18, v18, v12
	v_add_f32_e32 v12, v7, v16
	v_add_f32_e32 v7, v19, v16
	v_fmac_f32_e32 v18, v17, v13
	v_fma_f32 v29, -0.5, v7, v29
	v_sub_f32_e32 v7, v18, v20
	v_mov_b32_e32 v14, v29
	v_mul_f32_e32 v25, v27, v10
	v_fmac_f32_e32 v14, 0x3f5db3d7, v7
	v_fmac_f32_e32 v29, 0xbf5db3d7, v7
	v_add_f32_e32 v7, v30, v18
	v_fmac_f32_e32 v25, v28, v9
	v_add_f32_e32 v13, v7, v20
	ds_read2_b64 v[7:10], v2 offset0:6 offset1:12
	v_add_f32_e32 v15, v18, v20
	v_fmac_f32_e32 v30, -0.5, v15
	v_add_f32_e32 v17, v23, v0
	v_sub_f32_e32 v16, v19, v16
	v_mov_b32_e32 v15, v30
	s_waitcnt lgkmcnt(0)
	v_fma_f32 v18, -0.5, v17, v7
	v_fmac_f32_e32 v15, 0xbf5db3d7, v16
	v_fmac_f32_e32 v30, 0x3f5db3d7, v16
	v_add_f32_e32 v16, v7, v23
	v_sub_f32_e32 v7, v31, v3
	v_mov_b32_e32 v19, v18
	v_fmac_f32_e32 v19, 0x3f5db3d7, v7
	v_fmac_f32_e32 v18, 0xbf5db3d7, v7
	v_add_f32_e32 v7, v8, v31
	v_add_f32_e32 v17, v7, v3
	;; [unrolled: 1-line block ×3, first 2 shown]
	v_fma_f32 v3, -0.5, v3, v8
	v_add_f32_e32 v16, v16, v0
	v_sub_f32_e32 v0, v23, v0
	v_mov_b32_e32 v20, v3
	v_fmac_f32_e32 v20, 0xbf5db3d7, v0
	v_fmac_f32_e32 v3, 0x3f5db3d7, v0
	v_add_f32_e32 v0, v21, v24
	v_fma_f32 v0, -0.5, v0, v9
	v_sub_f32_e32 v7, v22, v25
	v_mov_b32_e32 v23, v0
	v_fmac_f32_e32 v23, 0x3f5db3d7, v7
	v_fmac_f32_e32 v0, 0xbf5db3d7, v7
	v_add_f32_e32 v7, v9, v21
	v_add_f32_e32 v9, v22, v25
	;; [unrolled: 1-line block ×3, first 2 shown]
	v_fmac_f32_e32 v10, -0.5, v9
	v_sub_f32_e32 v9, v21, v24
	v_mov_b32_e32 v21, v10
	v_add_f32_e32 v7, v7, v24
	v_add_f32_e32 v8, v8, v25
	v_fmac_f32_e32 v21, 0xbf5db3d7, v9
	v_fmac_f32_e32 v10, 0x3f5db3d7, v9
	s_waitcnt lgkmcnt(0)
	; wave barrier
	ds_write2_b64 v5, v[12:13], v[14:15] offset1:18
	ds_write_b64 v2, v[29:30] offset:288
	ds_write2_b32 v2, v19, v20 offset0:48 offset1:49
	ds_write2_b32 v2, v18, v3 offset0:84 offset1:85
	ds_write2_b64 v2, v[16:17], v[7:8] offset0:6 offset1:12
	ds_write2_b32 v2, v23, v21 offset0:60 offset1:61
	ds_write2_b32 v2, v0, v10 offset0:96 offset1:97
	s_waitcnt lgkmcnt(0)
	; wave barrier
	s_waitcnt lgkmcnt(0)
	s_and_saveexec_b64 s[0:1], vcc
	s_cbranch_execz .LBB0_16
; %bb.15:
	v_mad_u64_u32 v[2:3], s[0:1], s2, v6, 0
	s_load_dwordx2 s[0:1], s[4:5], 0x58
	v_mov_b32_e32 v5, v1
	v_mov_b32_e32 v0, v3
	v_mad_u64_u32 v[6:7], s[2:3], s3, v6, v[0:1]
	v_lshl_add_u32 v9, v4, 3, v11
	s_waitcnt lgkmcnt(0)
	v_mov_b32_e32 v0, s1
	v_mov_b32_e32 v3, v6
	v_lshlrev_b64 v[2:3], 3, v[2:3]
	v_add_co_u32_e32 v10, vcc, s0, v2
	v_addc_co_u32_e32 v11, vcc, v0, v3, vcc
	v_lshlrev_b64 v[2:3], 3, v[4:5]
	ds_read2_b64 v[5:8], v9 offset1:6
	v_add_co_u32_e32 v2, vcc, v10, v2
	v_addc_co_u32_e32 v3, vcc, v11, v3, vcc
	v_add_u32_e32 v0, 6, v4
	s_waitcnt lgkmcnt(0)
	global_store_dwordx2 v[2:3], v[5:6], off
	v_lshlrev_b64 v[2:3], 3, v[0:1]
	v_add_u32_e32 v0, 12, v4
	v_add_co_u32_e32 v2, vcc, v10, v2
	v_addc_co_u32_e32 v3, vcc, v11, v3, vcc
	global_store_dwordx2 v[2:3], v[7:8], off
	ds_read2_b64 v[5:8], v9 offset0:12 offset1:18
	v_lshlrev_b64 v[2:3], 3, v[0:1]
	v_add_u32_e32 v0, 18, v4
	v_add_co_u32_e32 v2, vcc, v10, v2
	v_addc_co_u32_e32 v3, vcc, v11, v3, vcc
	s_waitcnt lgkmcnt(0)
	global_store_dwordx2 v[2:3], v[5:6], off
	v_lshlrev_b64 v[2:3], 3, v[0:1]
	v_add_u32_e32 v0, 24, v4
	v_add_co_u32_e32 v2, vcc, v10, v2
	v_addc_co_u32_e32 v3, vcc, v11, v3, vcc
	global_store_dwordx2 v[2:3], v[7:8], off
	ds_read2_b64 v[5:8], v9 offset0:24 offset1:30
	v_lshlrev_b64 v[2:3], 3, v[0:1]
	v_add_u32_e32 v0, 30, v4
	v_add_co_u32_e32 v2, vcc, v10, v2
	v_addc_co_u32_e32 v3, vcc, v11, v3, vcc
	;; [unrolled: 12-line block ×3, first 2 shown]
	s_waitcnt lgkmcnt(0)
	global_store_dwordx2 v[2:3], v[5:6], off
	v_lshlrev_b64 v[2:3], 3, v[0:1]
	v_add_u32_e32 v0, 48, v4
	v_add_co_u32_e32 v2, vcc, v10, v2
	v_addc_co_u32_e32 v3, vcc, v11, v3, vcc
	global_store_dwordx2 v[2:3], v[7:8], off
	ds_read_b64 v[2:3], v9 offset:384
	v_lshlrev_b64 v[0:1], 3, v[0:1]
	v_add_co_u32_e32 v0, vcc, v10, v0
	v_addc_co_u32_e32 v1, vcc, v11, v1, vcc
	s_waitcnt lgkmcnt(0)
	global_store_dwordx2 v[0:1], v[2:3], off
.LBB0_16:
	s_endpgm
	.section	.rodata,"a",@progbits
	.p2align	6, 0x0
	.amdhsa_kernel fft_rtc_fwd_len54_factors_2_3_3_3_wgs_60_tpt_6_halfLds_dim1_sp_op_CI_CI_unitstride_sbrr_C2R_dirReg
		.amdhsa_group_segment_fixed_size 0
		.amdhsa_private_segment_fixed_size 0
		.amdhsa_kernarg_size 96
		.amdhsa_user_sgpr_count 6
		.amdhsa_user_sgpr_private_segment_buffer 1
		.amdhsa_user_sgpr_dispatch_ptr 0
		.amdhsa_user_sgpr_queue_ptr 0
		.amdhsa_user_sgpr_kernarg_segment_ptr 1
		.amdhsa_user_sgpr_dispatch_id 0
		.amdhsa_user_sgpr_flat_scratch_init 0
		.amdhsa_user_sgpr_private_segment_size 0
		.amdhsa_uses_dynamic_stack 0
		.amdhsa_system_sgpr_private_segment_wavefront_offset 0
		.amdhsa_system_sgpr_workgroup_id_x 1
		.amdhsa_system_sgpr_workgroup_id_y 0
		.amdhsa_system_sgpr_workgroup_id_z 0
		.amdhsa_system_sgpr_workgroup_info 0
		.amdhsa_system_vgpr_workitem_id 0
		.amdhsa_next_free_vgpr 37
		.amdhsa_next_free_sgpr 14
		.amdhsa_reserve_vcc 1
		.amdhsa_reserve_flat_scratch 0
		.amdhsa_float_round_mode_32 0
		.amdhsa_float_round_mode_16_64 0
		.amdhsa_float_denorm_mode_32 3
		.amdhsa_float_denorm_mode_16_64 3
		.amdhsa_dx10_clamp 1
		.amdhsa_ieee_mode 1
		.amdhsa_fp16_overflow 0
		.amdhsa_exception_fp_ieee_invalid_op 0
		.amdhsa_exception_fp_denorm_src 0
		.amdhsa_exception_fp_ieee_div_zero 0
		.amdhsa_exception_fp_ieee_overflow 0
		.amdhsa_exception_fp_ieee_underflow 0
		.amdhsa_exception_fp_ieee_inexact 0
		.amdhsa_exception_int_div_zero 0
	.end_amdhsa_kernel
	.text
.Lfunc_end0:
	.size	fft_rtc_fwd_len54_factors_2_3_3_3_wgs_60_tpt_6_halfLds_dim1_sp_op_CI_CI_unitstride_sbrr_C2R_dirReg, .Lfunc_end0-fft_rtc_fwd_len54_factors_2_3_3_3_wgs_60_tpt_6_halfLds_dim1_sp_op_CI_CI_unitstride_sbrr_C2R_dirReg
                                        ; -- End function
	.section	.AMDGPU.csdata,"",@progbits
; Kernel info:
; codeLenInByte = 3768
; NumSgprs: 18
; NumVgprs: 37
; ScratchSize: 0
; MemoryBound: 0
; FloatMode: 240
; IeeeMode: 1
; LDSByteSize: 0 bytes/workgroup (compile time only)
; SGPRBlocks: 2
; VGPRBlocks: 9
; NumSGPRsForWavesPerEU: 18
; NumVGPRsForWavesPerEU: 37
; Occupancy: 6
; WaveLimiterHint : 1
; COMPUTE_PGM_RSRC2:SCRATCH_EN: 0
; COMPUTE_PGM_RSRC2:USER_SGPR: 6
; COMPUTE_PGM_RSRC2:TRAP_HANDLER: 0
; COMPUTE_PGM_RSRC2:TGID_X_EN: 1
; COMPUTE_PGM_RSRC2:TGID_Y_EN: 0
; COMPUTE_PGM_RSRC2:TGID_Z_EN: 0
; COMPUTE_PGM_RSRC2:TIDIG_COMP_CNT: 0
	.type	__hip_cuid_fbf1cfb8068345cd,@object ; @__hip_cuid_fbf1cfb8068345cd
	.section	.bss,"aw",@nobits
	.globl	__hip_cuid_fbf1cfb8068345cd
__hip_cuid_fbf1cfb8068345cd:
	.byte	0                               ; 0x0
	.size	__hip_cuid_fbf1cfb8068345cd, 1

	.ident	"AMD clang version 19.0.0git (https://github.com/RadeonOpenCompute/llvm-project roc-6.4.0 25133 c7fe45cf4b819c5991fe208aaa96edf142730f1d)"
	.section	".note.GNU-stack","",@progbits
	.addrsig
	.addrsig_sym __hip_cuid_fbf1cfb8068345cd
	.amdgpu_metadata
---
amdhsa.kernels:
  - .args:
      - .actual_access:  read_only
        .address_space:  global
        .offset:         0
        .size:           8
        .value_kind:     global_buffer
      - .actual_access:  read_only
        .address_space:  global
        .offset:         8
        .size:           8
        .value_kind:     global_buffer
      - .actual_access:  read_only
        .address_space:  global
        .offset:         16
        .size:           8
        .value_kind:     global_buffer
      - .actual_access:  read_only
        .address_space:  global
        .offset:         24
        .size:           8
        .value_kind:     global_buffer
      - .offset:         32
        .size:           8
        .value_kind:     by_value
      - .actual_access:  read_only
        .address_space:  global
        .offset:         40
        .size:           8
        .value_kind:     global_buffer
      - .actual_access:  read_only
        .address_space:  global
        .offset:         48
        .size:           8
        .value_kind:     global_buffer
      - .offset:         56
        .size:           4
        .value_kind:     by_value
      - .actual_access:  read_only
        .address_space:  global
        .offset:         64
        .size:           8
        .value_kind:     global_buffer
      - .actual_access:  read_only
        .address_space:  global
        .offset:         72
        .size:           8
        .value_kind:     global_buffer
      - .actual_access:  read_only
        .address_space:  global
        .offset:         80
        .size:           8
        .value_kind:     global_buffer
      - .actual_access:  write_only
        .address_space:  global
        .offset:         88
        .size:           8
        .value_kind:     global_buffer
    .group_segment_fixed_size: 0
    .kernarg_segment_align: 8
    .kernarg_segment_size: 96
    .language:       OpenCL C
    .language_version:
      - 2
      - 0
    .max_flat_workgroup_size: 60
    .name:           fft_rtc_fwd_len54_factors_2_3_3_3_wgs_60_tpt_6_halfLds_dim1_sp_op_CI_CI_unitstride_sbrr_C2R_dirReg
    .private_segment_fixed_size: 0
    .sgpr_count:     18
    .sgpr_spill_count: 0
    .symbol:         fft_rtc_fwd_len54_factors_2_3_3_3_wgs_60_tpt_6_halfLds_dim1_sp_op_CI_CI_unitstride_sbrr_C2R_dirReg.kd
    .uniform_work_group_size: 1
    .uses_dynamic_stack: false
    .vgpr_count:     37
    .vgpr_spill_count: 0
    .wavefront_size: 64
amdhsa.target:   amdgcn-amd-amdhsa--gfx906
amdhsa.version:
  - 1
  - 2
...

	.end_amdgpu_metadata
